;; amdgpu-corpus repo=zjin-lcf/HeCBench kind=compiled arch=gfx1030 opt=O3
	.amdgcn_target "amdgcn-amd-amdhsa--gfx1030"
	.amdhsa_code_object_version 6
	.text
	.protected	_Z11binary_scanPiPKi    ; -- Begin function _Z11binary_scanPiPKi
	.globl	_Z11binary_scanPiPKi
	.p2align	8
	.type	_Z11binary_scanPiPKi,@function
_Z11binary_scanPiPKi:                   ; @_Z11binary_scanPiPKi
; %bb.0:
	s_load_dwordx4 s[4:7], s[4:5], 0x0
	v_lshlrev_b32_e32 v1, 2, v0
	v_and_b32_e32 v4, 31, v0
	v_lshrrev_b32_e32 v3, 5, v0
	s_mov_b32 s1, exec_lo
	v_lshlrev_b32_e32 v3, 2, v3
	s_waitcnt lgkmcnt(0)
	global_load_dword v2, v1, s[6:7]
	s_waitcnt vmcnt(0)
	v_cmp_lt_i32_e32 vcc_lo, 0, v2
	v_bfe_u32 v2, vcc_lo, 0, v4
	v_bcnt_u32_b32 v2, v2, 0
	v_cmpx_eq_u32_e32 31, v4
; %bb.1:
	v_cndmask_b32_e64 v5, 0, 1, vcc_lo
	v_add_nc_u32_e32 v5, v2, v5
	ds_write_b32 v3, v5
; %bb.2:
	s_or_b32 exec_lo, exec_lo, s1
	s_mov_b32 s0, exec_lo
	s_waitcnt lgkmcnt(0)
	s_barrier
	buffer_gl0_inv
	v_cmpx_gt_u32_e32 32, v0
	s_cbranch_execz .LBB0_4
; %bb.3:
	ds_read_b32 v10, v1
	v_lshlrev_b32_e32 v0, 1, v0
	s_mov_b64 s[2:3], src_shared_base
	v_mov_b32_e32 v5, s3
	v_mov_b32_e32 v7, s3
	v_sub_nc_u32_e32 v0, v0, v4
	v_mov_b32_e32 v9, s3
	v_mov_b32_e32 v11, s3
	v_lshlrev_b32_e32 v4, 2, v0
	v_mov_b32_e32 v0, 0
	v_add_nc_u32_e32 v6, 0x80, v4
	v_add_nc_u32_e32 v8, 0x7c, v4
	flat_store_dword v[4:5], v0
	s_waitcnt_vscnt null, 0x0
	s_waitcnt lgkmcnt(1)
	flat_store_dword v[6:7], v10
	s_waitcnt_vscnt null, 0x0
	flat_load_dword v0, v[6:7] glc dlc
	s_waitcnt vmcnt(0)
	flat_load_dword v10, v[8:9] glc dlc
	s_waitcnt vmcnt(0) lgkmcnt(0)
	v_add_nc_u32_e32 v0, v10, v0
	v_add_nc_u32_e32 v10, 0x78, v4
	flat_store_dword v[6:7], v0
	s_waitcnt_vscnt null, 0x0
	flat_load_dword v10, v[10:11] glc dlc
	s_waitcnt vmcnt(0) lgkmcnt(0)
	v_add_nc_u32_e32 v0, v10, v0
	v_add_nc_u32_e32 v10, 0x70, v4
	flat_store_dword v[6:7], v0
	s_waitcnt_vscnt null, 0x0
	flat_load_dword v10, v[10:11] glc dlc
	s_waitcnt vmcnt(0) lgkmcnt(0)
	v_add_nc_u32_e32 v0, v10, v0
	v_add_nc_u32_e32 v10, 0x60, v4
	;; [unrolled: 1-line block ×3, first 2 shown]
	flat_store_dword v[6:7], v0
	s_waitcnt_vscnt null, 0x0
	flat_load_dword v10, v[10:11] glc dlc
	s_waitcnt vmcnt(0) lgkmcnt(0)
	v_add_nc_u32_e32 v0, v10, v0
	flat_store_dword v[6:7], v0
	s_waitcnt_vscnt null, 0x0
	flat_load_dword v4, v[4:5] glc dlc
	s_waitcnt vmcnt(0) lgkmcnt(0)
	v_add_nc_u32_e32 v0, v4, v0
	flat_store_dword v[6:7], v0
	s_waitcnt_vscnt null, 0x0
	flat_load_dword v0, v[8:9] glc dlc
	s_waitcnt vmcnt(0) lgkmcnt(0)
	ds_write_b32 v1, v0
.LBB0_4:
	s_or_b32 exec_lo, exec_lo, s0
	s_waitcnt lgkmcnt(0)
	s_barrier
	buffer_gl0_inv
	ds_read_b32 v0, v3
	s_waitcnt lgkmcnt(0)
	v_add_nc_u32_e32 v0, v0, v2
	global_store_dword v1, v0, s[4:5]
	s_endpgm
	.section	.rodata,"a",@progbits
	.p2align	6, 0x0
	.amdhsa_kernel _Z11binary_scanPiPKi
		.amdhsa_group_segment_fixed_size 256
		.amdhsa_private_segment_fixed_size 0
		.amdhsa_kernarg_size 16
		.amdhsa_user_sgpr_count 6
		.amdhsa_user_sgpr_private_segment_buffer 1
		.amdhsa_user_sgpr_dispatch_ptr 0
		.amdhsa_user_sgpr_queue_ptr 0
		.amdhsa_user_sgpr_kernarg_segment_ptr 1
		.amdhsa_user_sgpr_dispatch_id 0
		.amdhsa_user_sgpr_flat_scratch_init 0
		.amdhsa_user_sgpr_private_segment_size 0
		.amdhsa_wavefront_size32 1
		.amdhsa_uses_dynamic_stack 0
		.amdhsa_system_sgpr_private_segment_wavefront_offset 0
		.amdhsa_system_sgpr_workgroup_id_x 1
		.amdhsa_system_sgpr_workgroup_id_y 0
		.amdhsa_system_sgpr_workgroup_id_z 0
		.amdhsa_system_sgpr_workgroup_info 0
		.amdhsa_system_vgpr_workitem_id 0
		.amdhsa_next_free_vgpr 12
		.amdhsa_next_free_sgpr 8
		.amdhsa_reserve_vcc 1
		.amdhsa_reserve_flat_scratch 0
		.amdhsa_float_round_mode_32 0
		.amdhsa_float_round_mode_16_64 0
		.amdhsa_float_denorm_mode_32 3
		.amdhsa_float_denorm_mode_16_64 3
		.amdhsa_dx10_clamp 1
		.amdhsa_ieee_mode 1
		.amdhsa_fp16_overflow 0
		.amdhsa_workgroup_processor_mode 1
		.amdhsa_memory_ordered 1
		.amdhsa_forward_progress 1
		.amdhsa_shared_vgpr_count 0
		.amdhsa_exception_fp_ieee_invalid_op 0
		.amdhsa_exception_fp_denorm_src 0
		.amdhsa_exception_fp_ieee_div_zero 0
		.amdhsa_exception_fp_ieee_overflow 0
		.amdhsa_exception_fp_ieee_underflow 0
		.amdhsa_exception_fp_ieee_inexact 0
		.amdhsa_exception_int_div_zero 0
	.end_amdhsa_kernel
	.text
.Lfunc_end0:
	.size	_Z11binary_scanPiPKi, .Lfunc_end0-_Z11binary_scanPiPKi
                                        ; -- End function
	.set _Z11binary_scanPiPKi.num_vgpr, 12
	.set _Z11binary_scanPiPKi.num_agpr, 0
	.set _Z11binary_scanPiPKi.numbered_sgpr, 8
	.set _Z11binary_scanPiPKi.num_named_barrier, 0
	.set _Z11binary_scanPiPKi.private_seg_size, 0
	.set _Z11binary_scanPiPKi.uses_vcc, 1
	.set _Z11binary_scanPiPKi.uses_flat_scratch, 0
	.set _Z11binary_scanPiPKi.has_dyn_sized_stack, 0
	.set _Z11binary_scanPiPKi.has_recursion, 0
	.set _Z11binary_scanPiPKi.has_indirect_call, 0
	.section	.AMDGPU.csdata,"",@progbits
; Kernel info:
; codeLenInByte = 456
; TotalNumSgprs: 10
; NumVgprs: 12
; ScratchSize: 0
; MemoryBound: 0
; FloatMode: 240
; IeeeMode: 1
; LDSByteSize: 256 bytes/workgroup (compile time only)
; SGPRBlocks: 0
; VGPRBlocks: 1
; NumSGPRsForWavesPerEU: 10
; NumVGPRsForWavesPerEU: 12
; Occupancy: 16
; WaveLimiterHint : 0
; COMPUTE_PGM_RSRC2:SCRATCH_EN: 0
; COMPUTE_PGM_RSRC2:USER_SGPR: 6
; COMPUTE_PGM_RSRC2:TRAP_HANDLER: 0
; COMPUTE_PGM_RSRC2:TGID_X_EN: 1
; COMPUTE_PGM_RSRC2:TGID_Y_EN: 0
; COMPUTE_PGM_RSRC2:TGID_Z_EN: 0
; COMPUTE_PGM_RSRC2:TIDIG_COMP_CNT: 0
	.text
	.p2alignl 6, 3214868480
	.fill 48, 4, 3214868480
	.section	.AMDGPU.gpr_maximums,"",@progbits
	.set amdgpu.max_num_vgpr, 0
	.set amdgpu.max_num_agpr, 0
	.set amdgpu.max_num_sgpr, 0
	.text
	.type	__hip_cuid_ebc4af2d9f9cb037,@object ; @__hip_cuid_ebc4af2d9f9cb037
	.section	.bss,"aw",@nobits
	.globl	__hip_cuid_ebc4af2d9f9cb037
__hip_cuid_ebc4af2d9f9cb037:
	.byte	0                               ; 0x0
	.size	__hip_cuid_ebc4af2d9f9cb037, 1

	.ident	"AMD clang version 22.0.0git (https://github.com/RadeonOpenCompute/llvm-project roc-7.2.4 26084 f58b06dce1f9c15707c5f808fd002e18c2accf7e)"
	.section	".note.GNU-stack","",@progbits
	.addrsig
	.addrsig_sym __hip_cuid_ebc4af2d9f9cb037
	.amdgpu_metadata
---
amdhsa.kernels:
  - .args:
      - .actual_access:  write_only
        .address_space:  global
        .offset:         0
        .size:           8
        .value_kind:     global_buffer
      - .actual_access:  read_only
        .address_space:  global
        .offset:         8
        .size:           8
        .value_kind:     global_buffer
    .group_segment_fixed_size: 256
    .kernarg_segment_align: 8
    .kernarg_segment_size: 16
    .language:       OpenCL C
    .language_version:
      - 2
      - 0
    .max_flat_workgroup_size: 1024
    .name:           _Z11binary_scanPiPKi
    .private_segment_fixed_size: 0
    .sgpr_count:     10
    .sgpr_spill_count: 0
    .symbol:         _Z11binary_scanPiPKi.kd
    .uniform_work_group_size: 1
    .uses_dynamic_stack: false
    .vgpr_count:     12
    .vgpr_spill_count: 0
    .wavefront_size: 32
    .workgroup_processor_mode: 1
amdhsa.target:   amdgcn-amd-amdhsa--gfx1030
amdhsa.version:
  - 1
  - 2
...

	.end_amdgpu_metadata
